;; amdgpu-corpus repo=ROCm/rocFFT kind=compiled arch=gfx906 opt=O3
	.text
	.amdgcn_target "amdgcn-amd-amdhsa--gfx906"
	.amdhsa_code_object_version 6
	.protected	fft_rtc_back_len72_factors_2_6_6_wgs_192_tpt_6_halfLds_dim2_sp_ip_CI_sbcc_twdbase8_2step_dirReg ; -- Begin function fft_rtc_back_len72_factors_2_6_6_wgs_192_tpt_6_halfLds_dim2_sp_ip_CI_sbcc_twdbase8_2step_dirReg
	.globl	fft_rtc_back_len72_factors_2_6_6_wgs_192_tpt_6_halfLds_dim2_sp_ip_CI_sbcc_twdbase8_2step_dirReg
	.p2align	8
	.type	fft_rtc_back_len72_factors_2_6_6_wgs_192_tpt_6_halfLds_dim2_sp_ip_CI_sbcc_twdbase8_2step_dirReg,@function
fft_rtc_back_len72_factors_2_6_6_wgs_192_tpt_6_halfLds_dim2_sp_ip_CI_sbcc_twdbase8_2step_dirReg: ; @fft_rtc_back_len72_factors_2_6_6_wgs_192_tpt_6_halfLds_dim2_sp_ip_CI_sbcc_twdbase8_2step_dirReg
; %bb.0:
	s_load_dwordx4 s[0:3], s[4:5], 0x10
	s_mov_b32 s7, 0
	s_mov_b64 s[20:21], -1
	s_mov_b64 s[22:23], 0
	s_waitcnt lgkmcnt(0)
	s_load_dwordx2 s[18:19], s[0:1], 0x8
	s_load_dwordx2 s[14:15], s[4:5], 0x50
	;; [unrolled: 1-line block ×3, first 2 shown]
	s_waitcnt lgkmcnt(0)
	s_add_u32 s0, s18, -1
	s_addc_u32 s1, s19, -1
	s_lshr_b64 s[0:1], s[0:1], 5
	s_add_u32 s0, s0, 1
	s_addc_u32 s1, s1, 0
	v_mov_b32_e32 v2, s1
	v_mov_b32_e32 v1, s0
	v_cmp_lt_u64_e32 vcc, s[6:7], v[1:2]
	s_cbranch_vccnz .LBB0_2
; %bb.1:
	v_cvt_f32_u32_e32 v1, s0
	s_sub_i32 s7, 0, s0
	v_rcp_iflag_f32_e32 v1, v1
	v_mul_f32_e32 v1, 0x4f7ffffe, v1
	v_cvt_u32_f32_e32 v1, v1
	v_readfirstlane_b32 s8, v1
	s_mul_i32 s7, s7, s8
	s_mul_hi_u32 s7, s8, s7
	s_add_i32 s8, s8, s7
	s_mul_hi_u32 s7, s6, s8
	s_mul_i32 s9, s7, s0
	s_sub_i32 s9, s6, s9
	s_add_i32 s8, s7, 1
	s_sub_i32 s10, s9, s0
	s_cmp_ge_u32 s9, s0
	s_cselect_b32 s7, s8, s7
	s_cselect_b32 s9, s10, s9
	s_add_i32 s8, s7, 1
	s_cmp_ge_u32 s9, s0
	s_cselect_b32 s22, s8, s7
.LBB0_2:
	s_mul_i32 s1, s22, s1
	s_mul_hi_u32 s7, s22, s0
	s_load_dwordx4 s[8:11], s[2:3], 0x8
	s_add_i32 s7, s7, s1
	s_mul_i32 s0, s22, s0
	s_sub_u32 s0, s6, s0
	s_subb_u32 s1, 0, s7
	v_mov_b32_e32 v1, s0
	s_lshl_b64 s[6:7], s[0:1], 5
	v_alignbit_b32 v1, s1, v1, 27
	v_readfirstlane_b32 s0, v1
	s_waitcnt lgkmcnt(0)
	s_mul_i32 s1, s6, s9
	s_mul_hi_u32 s2, s6, s8
	s_mul_i32 s0, s0, s8
	s_add_i32 s1, s2, s1
	s_mul_i32 s2, s11, s22
	s_mul_hi_u32 s3, s10, s22
	s_add_i32 s1, s1, s0
	s_mul_i32 s0, s6, s8
	s_add_i32 s3, s3, s2
	s_mul_i32 s2, s10, s22
	s_add_u32 s2, s2, s0
	s_addc_u32 s3, s3, s1
	v_and_b32_e32 v38, 31, v0
	s_load_dwordx2 s[16:17], s[4:5], 0x0
	v_or_b32_e32 v8, s6, v38
	s_add_u32 s6, s6, 32
	v_mov_b32_e32 v1, s18
	v_mov_b32_e32 v9, s7
	s_addc_u32 s7, s7, 0
	v_mov_b32_e32 v2, s19
	v_cmp_gt_u64_e32 vcc, s[6:7], v[1:2]
	v_cmp_le_u64_e64 s[0:1], s[6:7], v[1:2]
	v_lshrrev_b32_e32 v39, 5, v0
	s_cbranch_vccz .LBB0_8
; %bb.3:
	v_cmp_le_u64_e32 vcc, s[18:19], v[8:9]
                                        ; implicit-def: $vgpr37
                                        ; implicit-def: $vgpr7
                                        ; implicit-def: $vgpr28
	s_and_saveexec_b64 s[6:7], vcc
	s_xor_b64 s[6:7], exec, s[6:7]
; %bb.4:
	v_add_u32_e32 v37, 6, v39
	v_add_u32_e32 v7, 12, v39
	v_or_b32_e32 v28, 24, v39
; %bb.5:
	s_or_saveexec_b64 s[6:7], s[6:7]
                                        ; implicit-def: $vgpr3
                                        ; implicit-def: $vgpr1
                                        ; implicit-def: $vgpr12
                                        ; implicit-def: $vgpr14
                                        ; implicit-def: $vgpr20
                                        ; implicit-def: $vgpr26
                                        ; implicit-def: $vgpr22
                                        ; implicit-def: $vgpr24
                                        ; implicit-def: $vgpr16
                                        ; implicit-def: $vgpr18
                                        ; implicit-def: $vgpr5
                                        ; implicit-def: $vgpr10
	s_xor_b64 exec, exec, s[6:7]
	s_cbranch_execz .LBB0_7
; %bb.6:
	v_mad_u64_u32 v[1:2], s[10:11], s8, v38, 0
	v_mad_u64_u32 v[3:4], s[10:11], s12, v39, 0
	v_add_u32_e32 v10, 36, v39
	v_add_u32_e32 v37, 6, v39
	v_mad_u64_u32 v[5:6], s[10:11], s9, v38, v[2:3]
	v_mov_b32_e32 v2, v4
	v_mad_u64_u32 v[6:7], s[10:11], s13, v39, v[2:3]
	s_lshl_b64 s[10:11], s[2:3], 3
	s_add_u32 s20, s14, s10
	s_addc_u32 s10, s15, s11
	v_mov_b32_e32 v2, v5
	v_mov_b32_e32 v4, v6
	;; [unrolled: 1-line block ×3, first 2 shown]
	v_mad_u64_u32 v[5:6], s[10:11], s12, v10, 0
	v_lshlrev_b64 v[1:2], 3, v[1:2]
	v_or_b32_e32 v25, 48, v39
	v_add_co_u32_e32 v35, vcc, s20, v1
	v_addc_co_u32_e32 v36, vcc, v7, v2, vcc
	v_lshlrev_b64 v[1:2], 3, v[3:4]
	v_mov_b32_e32 v3, v6
	v_mad_u64_u32 v[3:4], s[10:11], s13, v10, v[3:4]
	v_mad_u64_u32 v[10:11], s[10:11], s12, v37, 0
	v_add_co_u32_e32 v12, vcc, v35, v1
	v_mov_b32_e32 v6, v3
	v_mov_b32_e32 v3, v11
	v_addc_co_u32_e32 v13, vcc, v36, v2, vcc
	v_lshlrev_b64 v[1:2], 3, v[5:6]
	v_mad_u64_u32 v[3:4], s[10:11], s13, v37, v[3:4]
	v_add_u32_e32 v6, 42, v39
	v_mad_u64_u32 v[4:5], s[10:11], s12, v6, 0
	v_mov_b32_e32 v11, v3
	v_add_co_u32_e32 v14, vcc, v35, v1
	v_mov_b32_e32 v3, v5
	v_mad_u64_u32 v[5:6], s[10:11], s13, v6, v[3:4]
	v_addc_co_u32_e32 v15, vcc, v36, v2, vcc
	v_lshlrev_b64 v[1:2], 3, v[10:11]
	v_add_u32_e32 v7, 12, v39
	v_mad_u64_u32 v[18:19], s[10:11], s12, v7, 0
	v_add_co_u32_e32 v16, vcc, v35, v1
	v_addc_co_u32_e32 v17, vcc, v36, v2, vcc
	v_lshlrev_b64 v[1:2], 3, v[4:5]
	v_or_b32_e32 v28, 24, v39
	v_add_co_u32_e32 v20, vcc, v35, v1
	v_mov_b32_e32 v1, v19
	v_mad_u64_u32 v[22:23], s[10:11], s13, v7, v[1:2]
	v_mad_u64_u32 v[23:24], s[10:11], s12, v25, 0
	v_addc_co_u32_e32 v21, vcc, v36, v2, vcc
	global_load_dwordx2 v[10:11], v[12:13], off
	global_load_dwordx2 v[3:4], v[14:15], off
	;; [unrolled: 1-line block ×4, first 2 shown]
	v_mov_b32_e32 v14, v24
	v_mad_u64_u32 v[14:15], s[10:11], s13, v25, v[14:15]
	v_add_u32_e32 v17, 18, v39
	v_mad_u64_u32 v[15:16], s[10:11], s12, v17, 0
	v_mov_b32_e32 v19, v22
	v_mov_b32_e32 v24, v14
	;; [unrolled: 1-line block ×3, first 2 shown]
	v_lshlrev_b64 v[12:13], 3, v[18:19]
	v_mad_u64_u32 v[16:17], s[10:11], s13, v17, v[14:15]
	v_add_u32_e32 v19, 54, v39
	v_mad_u64_u32 v[17:18], s[10:11], s12, v19, 0
	v_add_co_u32_e32 v20, vcc, v35, v12
	v_addc_co_u32_e32 v21, vcc, v36, v13, vcc
	v_lshlrev_b64 v[12:13], 3, v[23:24]
	v_mov_b32_e32 v14, v18
	v_add_co_u32_e32 v22, vcc, v35, v12
	v_addc_co_u32_e32 v23, vcc, v36, v13, vcc
	v_lshlrev_b64 v[12:13], 3, v[15:16]
	v_mad_u64_u32 v[14:15], s[10:11], s13, v19, v[14:15]
	v_mad_u64_u32 v[26:27], s[10:11], s12, v28, 0
	v_add_co_u32_e32 v24, vcc, v35, v12
	v_mov_b32_e32 v18, v14
	v_addc_co_u32_e32 v25, vcc, v36, v13, vcc
	v_lshlrev_b64 v[12:13], 3, v[17:18]
	v_add_u32_e32 v34, 60, v39
	v_add_co_u32_e32 v29, vcc, v35, v12
	v_mov_b32_e32 v12, v27
	v_mad_u64_u32 v[31:32], s[10:11], s13, v28, v[12:13]
	v_mad_u64_u32 v[32:33], s[10:11], s12, v34, 0
	v_addc_co_u32_e32 v30, vcc, v36, v13, vcc
	global_load_dwordx2 v[18:19], v[20:21], off
	global_load_dwordx2 v[12:13], v[22:23], off
	;; [unrolled: 1-line block ×4, first 2 shown]
	v_mov_b32_e32 v22, v33
	v_mad_u64_u32 v[22:23], s[10:11], s13, v34, v[22:23]
	v_add_u32_e32 v25, 30, v39
	v_mad_u64_u32 v[23:24], s[10:11], s12, v25, 0
	v_mov_b32_e32 v27, v31
	v_mov_b32_e32 v33, v22
	;; [unrolled: 1-line block ×3, first 2 shown]
	v_lshlrev_b64 v[20:21], 3, v[26:27]
	v_mad_u64_u32 v[24:25], s[10:11], s13, v25, v[22:23]
	v_add_u32_e32 v27, 0x42, v39
	v_mad_u64_u32 v[25:26], s[10:11], s12, v27, 0
	v_add_co_u32_e32 v29, vcc, v35, v20
	v_addc_co_u32_e32 v30, vcc, v36, v21, vcc
	v_lshlrev_b64 v[20:21], 3, v[32:33]
	v_mov_b32_e32 v22, v26
	v_add_co_u32_e32 v31, vcc, v35, v20
	v_addc_co_u32_e32 v32, vcc, v36, v21, vcc
	v_lshlrev_b64 v[20:21], 3, v[23:24]
	v_mad_u64_u32 v[22:23], s[10:11], s13, v27, v[22:23]
	v_add_co_u32_e32 v33, vcc, v35, v20
	v_mov_b32_e32 v26, v22
	v_addc_co_u32_e32 v34, vcc, v36, v21, vcc
	v_lshlrev_b64 v[20:21], 3, v[25:26]
	v_add_co_u32_e32 v35, vcc, v35, v20
	v_addc_co_u32_e32 v36, vcc, v36, v21, vcc
	global_load_dwordx2 v[24:25], v[29:30], off
	global_load_dwordx2 v[20:21], v[31:32], off
	;; [unrolled: 1-line block ×4, first 2 shown]
.LBB0_7:
	s_or_b64 exec, exec, s[6:7]
	s_cbranch_execz .LBB0_9
	s_branch .LBB0_10
.LBB0_8:
                                        ; implicit-def: $vgpr3
                                        ; implicit-def: $vgpr1
                                        ; implicit-def: $vgpr12
                                        ; implicit-def: $vgpr14
                                        ; implicit-def: $vgpr20
                                        ; implicit-def: $vgpr26
                                        ; implicit-def: $vgpr22
                                        ; implicit-def: $vgpr24
                                        ; implicit-def: $vgpr16
                                        ; implicit-def: $vgpr37
                                        ; implicit-def: $vgpr7
                                        ; implicit-def: $vgpr28
                                        ; implicit-def: $vgpr18
                                        ; implicit-def: $vgpr5
                                        ; implicit-def: $vgpr10
	s_andn2_b64 vcc, exec, s[20:21]
	s_cbranch_vccnz .LBB0_10
.LBB0_9:
	s_waitcnt vmcnt(8)
	v_mad_u64_u32 v[1:2], s[6:7], s8, v38, 0
	v_mad_u64_u32 v[3:4], s[6:7], s12, v39, 0
	v_add_u32_e32 v10, 36, v39
	v_add_u32_e32 v37, 6, v39
	v_mad_u64_u32 v[5:6], s[6:7], s9, v38, v[2:3]
	v_mov_b32_e32 v2, v4
	v_mad_u64_u32 v[6:7], s[6:7], s13, v39, v[2:3]
	s_lshl_b64 s[6:7], s[2:3], 3
	s_add_u32 s10, s14, s6
	s_addc_u32 s6, s15, s7
	v_mov_b32_e32 v2, v5
	v_mov_b32_e32 v4, v6
	;; [unrolled: 1-line block ×3, first 2 shown]
	v_mad_u64_u32 v[5:6], s[6:7], s12, v10, 0
	v_lshlrev_b64 v[1:2], 3, v[1:2]
	v_or_b32_e32 v28, 24, v39
	v_add_co_u32_e32 v48, vcc, s10, v1
	v_addc_co_u32_e32 v49, vcc, v7, v2, vcc
	v_lshlrev_b64 v[1:2], 3, v[3:4]
	v_mov_b32_e32 v3, v6
	v_mad_u64_u32 v[3:4], s[6:7], s13, v10, v[3:4]
	v_mad_u64_u32 v[10:11], s[6:7], s12, v37, 0
	s_waitcnt vmcnt(2)
	v_add_co_u32_e32 v20, vcc, v48, v1
	v_mov_b32_e32 v6, v3
	v_mov_b32_e32 v3, v11
	v_addc_co_u32_e32 v21, vcc, v49, v2, vcc
	v_lshlrev_b64 v[1:2], 3, v[5:6]
	v_mad_u64_u32 v[3:4], s[6:7], s13, v37, v[3:4]
	v_add_u32_e32 v6, 42, v39
	v_mad_u64_u32 v[4:5], s[6:7], s12, v6, 0
	s_waitcnt vmcnt(1)
	v_add_co_u32_e32 v22, vcc, v48, v1
	v_mov_b32_e32 v11, v3
	v_add_u32_e32 v7, 12, v39
	v_addc_co_u32_e32 v23, vcc, v49, v2, vcc
	v_lshlrev_b64 v[1:2], 3, v[10:11]
	v_mov_b32_e32 v3, v5
	v_mad_u64_u32 v[10:11], s[6:7], s12, v7, 0
	v_mad_u64_u32 v[5:6], s[6:7], s13, v6, v[3:4]
	v_add_co_u32_e32 v24, vcc, v48, v1
	v_mov_b32_e32 v3, v11
	v_addc_co_u32_e32 v25, vcc, v49, v2, vcc
	v_lshlrev_b64 v[1:2], 3, v[4:5]
	v_mad_u64_u32 v[3:4], s[6:7], s13, v7, v[3:4]
	v_or_b32_e32 v6, 48, v39
	v_mad_u64_u32 v[4:5], s[6:7], s12, v6, 0
	v_mov_b32_e32 v11, v3
	s_waitcnt vmcnt(0)
	v_add_co_u32_e32 v26, vcc, v48, v1
	v_mov_b32_e32 v3, v5
	v_mad_u64_u32 v[5:6], s[6:7], s13, v6, v[3:4]
	v_add_u32_e32 v6, 18, v39
	v_addc_co_u32_e32 v27, vcc, v49, v2, vcc
	v_lshlrev_b64 v[1:2], 3, v[10:11]
	v_mad_u64_u32 v[10:11], s[6:7], s12, v6, 0
	v_add_co_u32_e32 v29, vcc, v48, v1
	v_mov_b32_e32 v3, v11
	v_addc_co_u32_e32 v30, vcc, v49, v2, vcc
	v_lshlrev_b64 v[1:2], 3, v[4:5]
	v_mad_u64_u32 v[3:4], s[6:7], s13, v6, v[3:4]
	v_add_u32_e32 v6, 54, v39
	v_mad_u64_u32 v[4:5], s[6:7], s12, v6, 0
	v_add_co_u32_e32 v31, vcc, v48, v1
	v_mov_b32_e32 v11, v3
	v_addc_co_u32_e32 v32, vcc, v49, v2, vcc
	v_lshlrev_b64 v[1:2], 3, v[10:11]
	v_mov_b32_e32 v3, v5
	v_mad_u64_u32 v[10:11], s[6:7], s12, v28, 0
	v_mad_u64_u32 v[5:6], s[6:7], s13, v6, v[3:4]
	v_add_co_u32_e32 v33, vcc, v48, v1
	v_mov_b32_e32 v3, v11
	v_addc_co_u32_e32 v34, vcc, v49, v2, vcc
	v_lshlrev_b64 v[1:2], 3, v[4:5]
	v_mad_u64_u32 v[3:4], s[6:7], s13, v28, v[3:4]
	v_add_u32_e32 v6, 60, v39
	v_mad_u64_u32 v[4:5], s[6:7], s12, v6, 0
	v_mov_b32_e32 v11, v3
	v_add_co_u32_e32 v35, vcc, v48, v1
	v_mov_b32_e32 v3, v5
	v_mad_u64_u32 v[5:6], s[6:7], s13, v6, v[3:4]
	v_add_u32_e32 v6, 30, v39
	v_addc_co_u32_e32 v36, vcc, v49, v2, vcc
	v_lshlrev_b64 v[1:2], 3, v[10:11]
	v_mad_u64_u32 v[10:11], s[6:7], s12, v6, 0
	v_add_co_u32_e32 v40, vcc, v48, v1
	v_mov_b32_e32 v3, v11
	v_addc_co_u32_e32 v41, vcc, v49, v2, vcc
	v_lshlrev_b64 v[1:2], 3, v[4:5]
	v_mad_u64_u32 v[3:4], s[6:7], s13, v6, v[3:4]
	v_add_u32_e32 v4, 0x42, v39
	v_mad_u64_u32 v[42:43], s[6:7], s12, v4, 0
	v_mov_b32_e32 v11, v3
	v_add_co_u32_e32 v44, vcc, v48, v1
	v_mov_b32_e32 v3, v43
	v_mad_u64_u32 v[3:4], s[6:7], s13, v4, v[3:4]
	v_addc_co_u32_e32 v45, vcc, v49, v2, vcc
	v_lshlrev_b64 v[1:2], 3, v[10:11]
	v_mov_b32_e32 v43, v3
	v_add_co_u32_e32 v46, vcc, v48, v1
	v_addc_co_u32_e32 v47, vcc, v49, v2, vcc
	global_load_dwordx2 v[10:11], v[20:21], off
	global_load_dwordx2 v[3:4], v[22:23], off
	;; [unrolled: 1-line block ×8, first 2 shown]
	v_lshlrev_b64 v[20:21], 3, v[42:43]
	v_add_co_u32_e32 v29, vcc, v48, v20
	v_addc_co_u32_e32 v30, vcc, v49, v21, vcc
	global_load_dwordx2 v[24:25], v[40:41], off
	global_load_dwordx2 v[20:21], v[44:45], off
	;; [unrolled: 1-line block ×4, first 2 shown]
.LBB0_10:
	s_waitcnt vmcnt(10)
	v_sub_f32_e32 v3, v10, v3
	v_lshlrev_b32_e32 v29, 8, v39
	v_lshlrev_b32_e32 v34, 2, v38
	v_fma_f32 v10, v10, 2.0, -v3
	v_add3_u32 v35, 0, v29, v34
	ds_write2_b32 v35, v10, v3 offset1:32
	s_waitcnt vmcnt(8)
	v_sub_f32_e32 v1, v5, v1
	v_lshlrev_b32_e32 v3, 8, v37
	v_add3_u32 v3, 0, v3, v34
	v_fma_f32 v5, v5, 2.0, -v1
	ds_write2_b32 v3, v5, v1 offset1:32
	v_lshlrev_b32_e32 v1, 8, v7
	s_waitcnt vmcnt(6)
	v_sub_f32_e32 v5, v18, v12
	v_add3_u32 v1, 0, v1, v34
	v_fma_f32 v10, v18, 2.0, -v5
	ds_write2_b32 v1, v10, v5 offset1:32
	s_waitcnt vmcnt(4)
	v_sub_f32_e32 v5, v16, v14
	v_fma_f32 v10, v16, 2.0, -v5
	v_add_u32_e32 v16, 0x1000, v35
	ds_write2_b32 v16, v10, v5 offset0:128 offset1:160
	v_lshlrev_b32_e32 v5, 8, v28
	s_waitcnt vmcnt(2)
	v_sub_f32_e32 v10, v24, v20
	v_add3_u32 v5, 0, v5, v34
	v_fma_f32 v12, v24, 2.0, -v10
	ds_write2_b32 v5, v12, v10 offset1:32
	s_waitcnt vmcnt(0)
	v_sub_f32_e32 v10, v22, v26
	v_fma_f32 v12, v22, 2.0, -v10
	v_add_u32_e32 v18, 0x1c00, v35
	v_lshlrev_b32_e32 v7, 7, v7
	ds_write2_b32 v18, v12, v10 offset0:128 offset1:160
	v_sub_u32_e32 v12, v1, v7
	v_lshlrev_b32_e32 v7, 7, v28
	v_sub_f32_e32 v4, v11, v4
	v_sub_u32_e32 v43, v5, v7
	v_lshlrev_b32_e32 v7, 7, v37
	v_fma_f32 v20, v11, 2.0, -v4
	v_lshlrev_b32_e32 v10, 7, v39
	v_sub_u32_e32 v47, v3, v7
	v_sub_f32_e32 v2, v6, v2
	s_waitcnt lgkmcnt(0)
	s_barrier
	v_sub_u32_e32 v14, v35, v10
	ds_read_b32 v7, v47
	ds_read_b32 v22, v43
	ds_read_b32 v24, v12
	ds_read_b32 v26, v14 offset:8448
	ds_read2st64_b32 v[10:11], v14 offset1:9
	ds_read2st64_b32 v[28:29], v14 offset0:15 offset1:18
	ds_read2st64_b32 v[30:31], v14 offset0:21 offset1:24
	;; [unrolled: 1-line block ×3, first 2 shown]
	s_waitcnt lgkmcnt(0)
	s_barrier
	ds_write2_b32 v35, v20, v4 offset1:32
	v_fma_f32 v4, v6, 2.0, -v2
	ds_write2_b32 v3, v4, v2 offset1:32
	v_sub_f32_e32 v2, v19, v13
	v_sub_f32_e32 v4, v17, v15
	v_fma_f32 v3, v19, 2.0, -v2
	v_fma_f32 v6, v17, 2.0, -v4
	v_sub_f32_e32 v13, v25, v21
	v_sub_f32_e32 v17, v23, v27
	v_fma_f32 v15, v25, 2.0, -v13
	v_fma_f32 v19, v23, 2.0, -v17
	ds_write2_b32 v1, v3, v2 offset1:32
	ds_write2_b32 v16, v6, v4 offset0:128 offset1:160
	ds_write2_b32 v5, v15, v13 offset1:32
	ds_write2_b32 v18, v19, v17 offset0:128 offset1:160
	v_bfe_u32 v13, v0, 5, 1
	v_mul_u32_u24_e32 v1, 5, v13
	v_lshlrev_b32_e32 v19, 3, v1
	s_waitcnt lgkmcnt(0)
	s_barrier
	global_load_dwordx4 v[1:4], v19, s[16:17]
	global_load_dwordx4 v[15:18], v19, s[16:17] offset:16
	global_load_dwordx2 v[5:6], v19, s[16:17] offset:32
	ds_read_b32 v21, v12
	ds_read2st64_b32 v[19:20], v14 offset1:9
	ds_read_b32 v23, v43
	ds_read_b32 v25, v47
	ds_read_b32 v27, v14 offset:8448
	v_lshrrev_b32_e32 v0, 6, v0
	v_mul_u32_u24_e32 v0, 12, v0
	v_or_b32_e32 v0, v0, v13
	v_lshlrev_b32_e32 v0, 7, v0
	v_add3_u32 v0, 0, v0, v34
	v_cmp_gt_u64_e32 vcc, s[18:19], v[8:9]
	s_or_b64 s[0:1], s[0:1], vcc
	s_waitcnt vmcnt(2) lgkmcnt(4)
	v_mul_f32_e32 v35, v21, v2
	v_fmac_f32_e32 v35, v24, v1
	v_mul_f32_e32 v24, v24, v2
	v_fma_f32 v24, v21, v1, -v24
	s_waitcnt lgkmcnt(2)
	v_mul_f32_e32 v36, v23, v4
	v_mul_f32_e32 v21, v22, v4
	v_fmac_f32_e32 v36, v22, v3
	v_fma_f32 v23, v23, v3, -v21
	ds_read2st64_b32 v[21:22], v14 offset0:15 offset1:18
	v_mul_f32_e32 v40, v20, v2
	v_mul_f32_e32 v2, v11, v2
	v_fmac_f32_e32 v40, v11, v1
	v_fma_f32 v11, v20, v1, -v2
	s_waitcnt lgkmcnt(0)
	v_mul_f32_e32 v20, v21, v4
	v_mul_f32_e32 v1, v28, v4
	v_fmac_f32_e32 v20, v28, v3
	v_fma_f32 v21, v21, v3, -v1
	ds_read2st64_b32 v[1:2], v14 offset0:21 offset1:24
	s_waitcnt vmcnt(1)
	v_mul_f32_e32 v3, v29, v16
	v_mul_f32_e32 v28, v22, v16
	v_fma_f32 v22, v22, v15, -v3
	ds_read2st64_b32 v[3:4], v14 offset0:27 offset1:30
	v_fmac_f32_e32 v28, v29, v15
	s_waitcnt lgkmcnt(1)
	v_mul_f32_e32 v29, v2, v18
	v_mul_f32_e32 v41, v1, v16
	;; [unrolled: 1-line block ×3, first 2 shown]
	v_fmac_f32_e32 v29, v31, v17
	v_fmac_f32_e32 v41, v30, v15
	v_mul_f32_e32 v31, v31, v18
	v_fma_f32 v1, v1, v15, -v16
	s_waitcnt lgkmcnt(0)
	v_mul_f32_e32 v15, v3, v18
	v_mul_f32_e32 v16, v32, v18
	v_fma_f32 v2, v2, v17, -v31
	v_fmac_f32_e32 v15, v32, v17
	v_fma_f32 v3, v3, v17, -v16
	s_waitcnt vmcnt(0)
	v_mul_f32_e32 v16, v4, v6
	v_mul_f32_e32 v17, v33, v6
	v_fmac_f32_e32 v16, v33, v5
	v_fma_f32 v4, v4, v5, -v17
	v_mul_f32_e32 v17, v27, v6
	v_mul_f32_e32 v6, v26, v6
	v_fmac_f32_e32 v17, v26, v5
	v_fma_f32 v5, v27, v5, -v6
	v_add_f32_e32 v18, v36, v29
	v_add_f32_e32 v26, v28, v16
	;; [unrolled: 1-line block ×4, first 2 shown]
	v_fmac_f32_e32 v10, -0.5, v18
	v_add_f32_e32 v18, v35, v28
	v_fmac_f32_e32 v35, -0.5, v26
	v_add_f32_e32 v26, v24, v22
	v_fmac_f32_e32 v24, -0.5, v27
	v_sub_f32_e32 v28, v28, v16
	v_sub_f32_e32 v22, v22, v4
	v_mov_b32_e32 v32, v24
	v_fmac_f32_e32 v24, 0xbf5db3d7, v28
	v_sub_f32_e32 v27, v23, v2
	v_mov_b32_e32 v31, v35
	v_fmac_f32_e32 v35, 0x3f5db3d7, v22
	v_mul_f32_e32 v33, 0xbf5db3d7, v24
	v_mov_b32_e32 v30, v10
	v_fmac_f32_e32 v10, 0x3f5db3d7, v27
	v_fmac_f32_e32 v33, -0.5, v35
	v_add_f32_e32 v42, v10, v33
	v_sub_f32_e32 v10, v10, v33
	v_add_f32_e32 v33, v19, v23
	v_add_f32_e32 v23, v23, v2
	v_fmac_f32_e32 v19, -0.5, v23
	v_mul_f32_e32 v23, -0.5, v24
	v_sub_f32_e32 v24, v36, v29
	v_fmac_f32_e32 v23, 0x3f5db3d7, v35
	v_mov_b32_e32 v35, v19
	v_fmac_f32_e32 v19, 0xbf5db3d7, v24
	v_fmac_f32_e32 v32, 0x3f5db3d7, v28
	v_add_f32_e32 v36, v19, v23
	v_sub_f32_e32 v23, v19, v23
	v_fmac_f32_e32 v31, 0xbf5db3d7, v22
	v_mul_f32_e32 v19, 0.5, v32
	v_fmac_f32_e32 v30, 0xbf5db3d7, v27
	v_add_f32_e32 v2, v33, v2
	v_fmac_f32_e32 v35, 0x3f5db3d7, v24
	v_add_f32_e32 v4, v26, v4
	;; [unrolled: 2-line block ×3, first 2 shown]
	v_add_f32_e32 v24, v2, v4
	v_sub_f32_e32 v2, v2, v4
	v_add_f32_e32 v4, v35, v19
	v_sub_f32_e32 v26, v35, v19
	v_add_f32_e32 v19, v7, v20
	v_fmac_f32_e32 v7, -0.5, v27
	v_sub_f32_e32 v27, v21, v3
	v_mov_b32_e32 v28, v7
	v_fmac_f32_e32 v28, 0xbf5db3d7, v27
	v_fmac_f32_e32 v7, 0x3f5db3d7, v27
	v_add_f32_e32 v27, v25, v21
	v_add_f32_e32 v27, v27, v3
	;; [unrolled: 1-line block ×3, first 2 shown]
	v_fmac_f32_e32 v25, -0.5, v3
	v_add_f32_e32 v3, v19, v15
	v_sub_f32_e32 v15, v20, v15
	v_mov_b32_e32 v19, v25
	v_add_f32_e32 v20, v41, v17
	v_fmac_f32_e32 v19, 0x3f5db3d7, v15
	v_fmac_f32_e32 v25, 0xbf5db3d7, v15
	v_add_f32_e32 v15, v40, v41
	v_fmac_f32_e32 v40, -0.5, v20
	v_sub_f32_e32 v20, v1, v5
	v_mov_b32_e32 v21, v40
	v_fmac_f32_e32 v21, 0xbf5db3d7, v20
	v_fmac_f32_e32 v40, 0x3f5db3d7, v20
	v_add_f32_e32 v20, v11, v1
	v_add_f32_e32 v1, v1, v5
	;; [unrolled: 1-line block ×3, first 2 shown]
	v_mul_f32_e32 v18, 0xbf5db3d7, v32
	v_fmac_f32_e32 v11, -0.5, v1
	v_add_f32_e32 v6, v6, v29
	v_fmac_f32_e32 v18, 0.5, v31
	v_add_f32_e32 v20, v20, v5
	v_add_f32_e32 v1, v15, v17
	v_sub_f32_e32 v5, v41, v17
	v_mov_b32_e32 v15, v11
	v_add_f32_e32 v22, v6, v16
	v_sub_f32_e32 v6, v6, v16
	v_add_f32_e32 v16, v30, v18
	v_fmac_f32_e32 v15, 0x3f5db3d7, v5
	s_barrier
	ds_write2st64_b32 v0, v22, v16 offset1:1
	v_mul_f32_e32 v16, 0xbf5db3d7, v15
	v_mul_f32_e32 v15, 0.5, v15
	v_fmac_f32_e32 v16, 0.5, v21
	v_fmac_f32_e32 v15, 0x3f5db3d7, v21
	v_sub_f32_e32 v18, v30, v18
	v_add_f32_e32 v21, v28, v16
	v_sub_f32_e32 v16, v28, v16
	v_add_f32_e32 v28, v19, v15
	v_sub_f32_e32 v30, v19, v15
	v_lshrrev_b32_e32 v15, 1, v37
	v_mul_lo_u32 v15, v15, 12
	v_fmac_f32_e32 v11, 0xbf5db3d7, v5
	ds_write2st64_b32 v0, v42, v6 offset0:2 offset1:3
	ds_write2st64_b32 v0, v18, v10 offset0:4 offset1:5
	v_mul_f32_e32 v17, 0xbf5db3d7, v11
	v_or_b32_e32 v6, v15, v13
	v_mul_f32_e32 v11, -0.5, v11
	v_lshlrev_b32_e32 v6, 7, v6
	v_add_f32_e32 v5, v3, v1
	v_fmac_f32_e32 v17, -0.5, v40
	v_fmac_f32_e32 v11, 0x3f5db3d7, v40
	v_add3_u32 v6, 0, v6, v34
	v_sub_f32_e32 v1, v3, v1
	v_add_f32_e32 v3, v7, v17
	v_add_f32_e32 v22, v27, v20
	v_sub_f32_e32 v7, v7, v17
	v_sub_f32_e32 v27, v27, v20
	v_add_f32_e32 v29, v25, v11
	v_sub_f32_e32 v25, v25, v11
	ds_write2st64_b32 v6, v5, v21 offset1:1
	ds_write2st64_b32 v6, v3, v1 offset0:2 offset1:3
	ds_write2st64_b32 v6, v16, v7 offset0:4 offset1:5
	s_waitcnt lgkmcnt(0)
	s_barrier
	ds_read2st64_b32 v[10:11], v14 offset1:9
	ds_read2st64_b32 v[17:18], v14 offset0:15 offset1:18
	ds_read2st64_b32 v[19:20], v14 offset0:21 offset1:24
	;; [unrolled: 1-line block ×3, first 2 shown]
	ds_read_b32 v44, v47
	ds_read_b32 v42, v43
	;; [unrolled: 1-line block ×3, first 2 shown]
	ds_read_b32 v46, v14 offset:8448
	s_waitcnt lgkmcnt(0)
	s_barrier
	ds_write2st64_b32 v0, v24, v4 offset1:1
	ds_write2st64_b32 v0, v36, v2 offset0:2 offset1:3
	ds_write2st64_b32 v0, v26, v23 offset0:4 offset1:5
	ds_write2st64_b32 v6, v22, v28 offset1:1
	ds_write2st64_b32 v6, v29, v27 offset0:2 offset1:3
	ds_write2st64_b32 v6, v30, v25 offset0:4 offset1:5
	s_waitcnt lgkmcnt(0)
	s_barrier
	s_and_saveexec_b64 s[6:7], s[0:1]
	s_cbranch_execz .LBB0_12
; %bb.11:
	s_movk_i32 s0, 0xab
	v_mul_lo_u16_sdwa v0, v37, s0 dst_sel:DWORD dst_unused:UNUSED_PAD src0_sel:BYTE_0 src1_sel:DWORD
	v_lshrrev_b16_e32 v40, 11, v0
	v_mul_lo_u16_e32 v0, 12, v40
	v_sub_u16_e32 v0, v37, v0
	v_and_b32_e32 v45, 0xff, v0
	v_mul_u32_u24_e32 v0, 5, v45
	v_lshlrev_b32_e32 v9, 3, v0
	global_load_dwordx4 v[0:3], v9, s[16:17] offset:80
	global_load_dwordx4 v[4:7], v9, s[16:17] offset:96
	global_load_dwordx2 v[27:28], v9, s[16:17] offset:112
	v_add_u32_e32 v9, 60, v45
	v_mul_lo_u32 v13, v8, v9
	s_load_dwordx2 s[0:1], s[4:5], 0x8
	v_mov_b32_e32 v9, 3
	v_add_u32_e32 v49, 36, v45
	v_lshlrev_b32_sdwa v21, v9, v13 dst_sel:DWORD dst_unused:UNUSED_PAD src0_sel:DWORD src1_sel:BYTE_0
	v_lshlrev_b32_sdwa v13, v9, v13 dst_sel:DWORD dst_unused:UNUSED_PAD src0_sel:DWORD src1_sel:BYTE_1
	s_waitcnt lgkmcnt(0)
	global_load_dwordx2 v[29:30], v21, s[0:1]
	global_load_dwordx2 v[31:32], v13, s[0:1] offset:2048
	v_or_b32_e32 v13, 48, v45
	v_mul_lo_u32 v13, v8, v13
	v_mul_lo_u32 v50, v8, v49
	v_lshlrev_b32_sdwa v21, v9, v13 dst_sel:DWORD dst_unused:UNUSED_PAD src0_sel:DWORD src1_sel:BYTE_0
	v_lshlrev_b32_sdwa v13, v9, v13 dst_sel:DWORD dst_unused:UNUSED_PAD src0_sel:DWORD src1_sel:BYTE_1
	global_load_dwordx2 v[33:34], v21, s[0:1]
	global_load_dwordx2 v[35:36], v13, s[0:1] offset:2048
	ds_read2st64_b32 v[23:24], v14 offset0:15 offset1:18
	ds_read2st64_b32 v[21:22], v14 offset0:27 offset1:30
	;; [unrolled: 1-line block ×3, first 2 shown]
	ds_read_b32 v48, v14 offset:8448
	ds_read2st64_b32 v[13:14], v14 offset1:9
	ds_read_b32 v47, v47
	ds_read_b32 v43, v43
	;; [unrolled: 1-line block ×3, first 2 shown]
	v_lshlrev_b32_sdwa v12, v9, v50 dst_sel:DWORD dst_unused:UNUSED_PAD src0_sel:DWORD src1_sel:BYTE_0
	v_lshlrev_b32_sdwa v50, v9, v50 dst_sel:DWORD dst_unused:UNUSED_PAD src0_sel:DWORD src1_sel:BYTE_1
	s_waitcnt vmcnt(6)
	v_mul_f32_e32 v51, v17, v3
	s_waitcnt vmcnt(5)
	v_mul_f32_e32 v52, v15, v7
	s_waitcnt lgkmcnt(7)
	v_mul_f32_e32 v53, v23, v3
	s_waitcnt lgkmcnt(6)
	v_mul_f32_e32 v54, v21, v7
	v_mul_f32_e32 v3, v19, v5
	s_waitcnt vmcnt(4)
	v_mul_f32_e32 v7, v46, v28
	s_waitcnt lgkmcnt(5)
	v_mul_f32_e32 v56, v25, v5
	s_waitcnt lgkmcnt(3)
	v_mul_f32_e32 v55, v14, v1
	v_fma_f32 v25, v25, v4, -v3
	v_fmac_f32_e32 v56, v19, v4
	v_mul_f32_e32 v19, v48, v28
	v_mul_f32_e32 v1, v11, v1
	v_fmac_f32_e32 v53, v17, v2
	v_fma_f32 v17, v48, v27, -v7
	v_fma_f32 v21, v21, v6, -v52
	v_fmac_f32_e32 v54, v15, v6
	v_fma_f32 v15, v23, v2, -v51
	v_fmac_f32_e32 v19, v46, v27
	v_fma_f32 v23, v14, v0, -v1
	v_add_f32_e32 v4, v25, v17
	v_fmac_f32_e32 v55, v11, v0
	v_add_f32_e32 v0, v15, v21
	v_add_f32_e32 v3, v56, v19
	;; [unrolled: 1-line block ×3, first 2 shown]
	v_fma_f32 v27, -0.5, v4, v23
	v_sub_f32_e32 v11, v56, v19
	s_waitcnt lgkmcnt(2)
	v_fma_f32 v48, -0.5, v0, v47
	v_fma_f32 v3, -0.5, v3, v55
	;; [unrolled: 1-line block ×3, first 2 shown]
	s_waitcnt vmcnt(2)
	v_mul_f32_e32 v0, v30, v32
	v_mov_b32_e32 v5, v27
	v_sub_f32_e32 v2, v25, v17
	v_mul_f32_e32 v4, v29, v32
	v_fma_f32 v28, v29, v31, -v0
	v_mov_b32_e32 v0, v3
	v_fmac_f32_e32 v5, 0xbf5db3d7, v11
	v_sub_f32_e32 v14, v15, v21
	v_fmac_f32_e32 v4, v30, v31
	v_mov_b32_e32 v30, v51
	v_fmac_f32_e32 v0, 0x3f5db3d7, v2
	v_mul_f32_e32 v52, 0xbf5db3d7, v5
	v_sub_f32_e32 v1, v53, v54
	v_mov_b32_e32 v29, v48
	v_fmac_f32_e32 v30, 0x3f5db3d7, v14
	v_mul_f32_e32 v46, -0.5, v5
	v_fmac_f32_e32 v52, -0.5, v0
	v_fmac_f32_e32 v48, 0x3f5db3d7, v1
	v_fmac_f32_e32 v29, 0xbf5db3d7, v1
	s_waitcnt vmcnt(0)
	v_mul_f32_e32 v1, v34, v36
	v_fmac_f32_e32 v46, 0x3f5db3d7, v0
	v_sub_f32_e32 v32, v30, v52
	v_fma_f32 v31, v33, v35, -v1
	v_sub_f32_e32 v1, v29, v46
	v_mul_f32_e32 v5, v32, v4
	v_mul_f32_e32 v0, v1, v4
	v_fma_f32 v1, v1, v28, -v5
	global_load_dwordx2 v[4:5], v12, s[0:1]
	global_load_dwordx2 v[6:7], v50, s[0:1] offset:2048
	v_fmac_f32_e32 v27, 0x3f5db3d7, v11
	v_fmac_f32_e32 v3, 0xbf5db3d7, v2
	v_mul_f32_e32 v57, 0xbf5db3d7, v27
	v_mul_f32_e32 v2, v33, v36
	v_mul_f32_e32 v50, 0.5, v27
	v_fmac_f32_e32 v51, 0xbf5db3d7, v14
	v_fmac_f32_e32 v57, 0.5, v3
	v_fmac_f32_e32 v2, v34, v35
	v_fmac_f32_e32 v50, 0x3f5db3d7, v3
	v_sub_f32_e32 v12, v51, v57
	v_sub_f32_e32 v11, v48, v50
	v_mul_f32_e32 v3, v12, v2
	v_fma_f32 v3, v11, v31, -v3
	v_mul_f32_e32 v2, v11, v2
	v_add_u32_e32 v11, 24, v45
	v_mul_lo_u32 v11, v8, v11
	v_fmac_f32_e32 v0, v32, v28
	v_fmac_f32_e32 v2, v12, v31
	v_add_f32_e32 v27, v47, v15
	v_lshlrev_b32_sdwa v28, v9, v11 dst_sel:DWORD dst_unused:UNUSED_PAD src0_sel:DWORD src1_sel:BYTE_0
	v_lshlrev_b32_sdwa v31, v9, v11 dst_sel:DWORD dst_unused:UNUSED_PAD src0_sel:DWORD src1_sel:BYTE_1
	global_load_dwordx2 v[11:12], v28, s[0:1]
	global_load_dwordx2 v[14:15], v31, s[0:1] offset:2048
	v_add_u32_e32 v28, 12, v45
	v_mul_lo_u32 v28, v8, v28
	v_add_f32_e32 v58, v27, v21
	v_add_f32_e32 v21, v23, v25
	;; [unrolled: 1-line block ×3, first 2 shown]
	v_lshlrev_b32_sdwa v21, v9, v28 dst_sel:DWORD dst_unused:UNUSED_PAD src0_sel:DWORD src1_sel:BYTE_0
	v_lshlrev_b32_sdwa v23, v9, v28 dst_sel:DWORD dst_unused:UNUSED_PAD src0_sel:DWORD src1_sel:BYTE_1
	global_load_dwordx2 v[31:32], v21, s[0:1]
	global_load_dwordx2 v[33:34], v23, s[0:1] offset:2048
	v_add_f32_e32 v21, v44, v53
	v_add_f32_e32 v25, v21, v54
	v_add_f32_e32 v27, v55, v56
	v_add_f32_e32 v19, v27, v19
	v_sub_f32_e32 v23, v58, v17
	v_sub_f32_e32 v27, v25, v19
	v_add_f32_e32 v19, v25, v19
	s_waitcnt vmcnt(4)
	v_mul_f32_e32 v21, v5, v7
	v_fma_f32 v21, v4, v6, -v21
	v_mul_f32_e32 v4, v4, v7
	v_fmac_f32_e32 v4, v5, v6
	v_mul_lo_u32 v6, v8, v45
	v_mul_f32_e32 v5, v27, v4
	v_mul_f32_e32 v4, v23, v4
	v_fma_f32 v5, v23, v21, -v5
	v_lshlrev_b32_sdwa v7, v9, v6 dst_sel:DWORD dst_unused:UNUSED_PAD src0_sel:DWORD src1_sel:BYTE_0
	v_lshlrev_b32_sdwa v6, v9, v6 dst_sel:DWORD dst_unused:UNUSED_PAD src0_sel:DWORD src1_sel:BYTE_1
	global_load_dwordx2 v[35:36], v7, s[0:1]
	global_load_dwordx2 v[44:45], v6, s[0:1] offset:2048
	v_fmac_f32_e32 v4, v27, v21
	v_add_f32_e32 v23, v30, v52
	v_add_f32_e32 v6, v29, v46
	s_waitcnt vmcnt(4)
	v_mul_f32_e32 v7, v12, v15
	v_fma_f32 v21, v11, v14, -v7
	v_mul_f32_e32 v11, v11, v15
	v_fmac_f32_e32 v11, v12, v14
	v_mul_f32_e32 v7, v23, v11
	v_mul_u32_u24_e32 v12, 5, v39
	v_fma_f32 v7, v6, v21, -v7
	v_mul_f32_e32 v6, v6, v11
	s_waitcnt vmcnt(2)
	v_mul_f32_e32 v11, v32, v34
	v_lshlrev_b32_e32 v12, 3, v12
	global_load_dwordx4 v[27:30], v12, s[16:17] offset:80
	v_fma_f32 v14, v31, v33, -v11
	v_mul_f32_e32 v11, v31, v34
	v_fmac_f32_e32 v11, v32, v33
	global_load_dwordx4 v[31:34], v12, s[16:17] offset:96
	v_fmac_f32_e32 v6, v23, v21
	v_add_f32_e32 v23, v51, v57
	global_load_dwordx2 v[46:47], v12, s[16:17] offset:112
	v_add_f32_e32 v15, v48, v50
	v_mul_f32_e32 v12, v23, v11
	v_add_u32_e32 v21, 60, v39
	v_fma_f32 v12, v15, v14, -v12
	v_mul_f32_e32 v11, v15, v11
	v_mul_lo_u32 v15, v8, v21
	v_fmac_f32_e32 v11, v23, v14
	v_or_b32_e32 v23, 48, v39
	v_lshlrev_b32_sdwa v14, v9, v15 dst_sel:DWORD dst_unused:UNUSED_PAD src0_sel:DWORD src1_sel:BYTE_0
	v_lshlrev_b32_sdwa v15, v9, v15 dst_sel:DWORD dst_unused:UNUSED_PAD src0_sel:DWORD src1_sel:BYTE_1
	global_load_dwordx2 v[50:51], v14, s[0:1]
	global_load_dwordx2 v[52:53], v15, s[0:1] offset:2048
	v_add_f32_e32 v14, v58, v17
	s_waitcnt vmcnt(5)
	v_mul_f32_e32 v15, v36, v45
	v_fma_f32 v17, v35, v44, -v15
	v_mul_f32_e32 v25, v35, v45
	v_mul_lo_u32 v35, v8, v23
	v_fmac_f32_e32 v25, v36, v44
	v_mul_f32_e32 v15, v19, v25
	v_fma_f32 v15, v14, v17, -v15
	v_mul_f32_e32 v14, v14, v25
	v_fmac_f32_e32 v14, v19, v17
	v_lshlrev_b32_sdwa v17, v9, v35 dst_sel:DWORD dst_unused:UNUSED_PAD src0_sel:DWORD src1_sel:BYTE_0
	v_lshlrev_b32_sdwa v19, v9, v35 dst_sel:DWORD dst_unused:UNUSED_PAD src0_sel:DWORD src1_sel:BYTE_1
	global_load_dwordx2 v[35:36], v17, s[0:1]
	global_load_dwordx2 v[44:45], v19, s[0:1] offset:2048
	s_waitcnt vmcnt(6)
	v_mul_f32_e32 v17, v42, v30
	s_waitcnt lgkmcnt(1)
	v_fma_f32 v48, v43, v29, -v17
	v_mul_f32_e32 v54, v43, v30
	v_fmac_f32_e32 v54, v42, v29
	s_waitcnt vmcnt(5)
	v_mul_f32_e32 v17, v20, v34
	v_fma_f32 v42, v26, v33, -v17
	v_add_f32_e32 v17, v48, v42
	v_fma_f32 v56, -0.5, v17, v13
	v_mul_f32_e32 v17, v18, v32
	v_fma_f32 v57, v24, v31, -v17
	s_waitcnt vmcnt(4)
	v_mul_f32_e32 v17, v16, v47
	v_mul_f32_e32 v58, v24, v32
	v_fma_f32 v60, v22, v46, -v17
	v_mul_f32_e32 v47, v22, v47
	v_mul_f32_e32 v17, v41, v28
	;; [unrolled: 1-line block ×3, first 2 shown]
	v_fmac_f32_e32 v58, v18, v31
	s_waitcnt lgkmcnt(0)
	v_mul_f32_e32 v61, v49, v28
	v_fmac_f32_e32 v47, v16, v46
	v_fma_f32 v46, v49, v27, -v17
	v_add_f32_e32 v17, v57, v60
	v_fmac_f32_e32 v55, v20, v33
	v_fmac_f32_e32 v61, v41, v27
	v_add_f32_e32 v16, v58, v47
	v_fma_f32 v28, -0.5, v17, v46
	v_fma_f32 v22, -0.5, v16, v61
	v_sub_f32_e32 v20, v58, v47
	v_mov_b32_e32 v17, v28
	v_add_f32_e32 v27, v54, v55
	v_sub_f32_e32 v19, v54, v55
	v_mov_b32_e32 v59, v56
	v_sub_f32_e32 v18, v57, v60
	v_mov_b32_e32 v16, v22
	v_fmac_f32_e32 v17, 0xbf5db3d7, v20
	v_fma_f32 v62, -0.5, v27, v10
	v_fmac_f32_e32 v28, 0x3f5db3d7, v20
	v_add_u32_e32 v20, 36, v39
	v_fmac_f32_e32 v59, 0xbf5db3d7, v19
	v_fmac_f32_e32 v16, 0x3f5db3d7, v18
	v_mul_f32_e32 v49, -0.5, v17
	v_sub_f32_e32 v26, v48, v42
	v_mov_b32_e32 v63, v62
	v_mul_f32_e32 v64, 0xbf5db3d7, v17
	v_fmac_f32_e32 v56, 0x3f5db3d7, v19
	v_mul_lo_u32 v19, v8, v20
	v_fmac_f32_e32 v49, 0x3f5db3d7, v16
	v_fmac_f32_e32 v63, 0x3f5db3d7, v26
	v_fmac_f32_e32 v64, -0.5, v16
	s_waitcnt vmcnt(2)
	v_mul_f32_e32 v16, v50, v53
	v_mul_f32_e32 v25, v51, v53
	v_sub_f32_e32 v27, v63, v64
	v_fmac_f32_e32 v16, v51, v52
	v_sub_f32_e32 v24, v59, v49
	v_fma_f32 v25, v50, v52, -v25
	v_mul_f32_e32 v17, v27, v16
	v_fmac_f32_e32 v22, 0xbf5db3d7, v18
	v_mul_f32_e32 v50, 0.5, v28
	v_mul_f32_e32 v51, 0xbf5db3d7, v28
	v_fma_f32 v17, v24, v25, -v17
	v_mul_f32_e32 v16, v24, v16
	v_fmac_f32_e32 v50, 0x3f5db3d7, v22
	v_lshlrev_b32_sdwa v29, v9, v19 dst_sel:DWORD dst_unused:UNUSED_PAD src0_sel:DWORD src1_sel:BYTE_0
	v_fmac_f32_e32 v51, 0.5, v22
	v_or_b32_e32 v22, 24, v39
	v_fmac_f32_e32 v16, v27, v25
	v_fmac_f32_e32 v62, 0xbf5db3d7, v26
	v_lshlrev_b32_sdwa v19, v9, v19 dst_sel:DWORD dst_unused:UNUSED_PAD src0_sel:DWORD src1_sel:BYTE_1
	v_sub_f32_e32 v33, v62, v51
	v_sub_f32_e32 v18, v56, v50
	s_waitcnt vmcnt(0)
	v_mul_f32_e32 v24, v36, v45
	v_fma_f32 v32, v35, v44, -v24
	global_load_dwordx2 v[24:25], v29, s[0:1]
	global_load_dwordx2 v[26:27], v19, s[0:1] offset:2048
	v_mul_f32_e32 v28, v35, v45
	v_mul_lo_u32 v29, v8, v22
	v_fmac_f32_e32 v28, v36, v44
	v_mul_f32_e32 v19, v33, v28
	v_fma_f32 v19, v18, v32, -v19
	v_mul_f32_e32 v18, v18, v28
	v_add_u32_e32 v36, 12, v39
	v_lshlrev_b32_sdwa v34, v9, v29 dst_sel:DWORD dst_unused:UNUSED_PAD src0_sel:DWORD src1_sel:BYTE_0
	v_fmac_f32_e32 v18, v33, v32
	v_mul_lo_u32 v32, v8, v36
	v_lshlrev_b32_sdwa v35, v9, v29 dst_sel:DWORD dst_unused:UNUSED_PAD src0_sel:DWORD src1_sel:BYTE_1
	global_load_dwordx2 v[28:29], v34, s[0:1]
	global_load_dwordx2 v[30:31], v35, s[0:1] offset:2048
	v_mul_lo_u32 v8, v8, v39
	v_lshlrev_b32_sdwa v41, v9, v32 dst_sel:DWORD dst_unused:UNUSED_PAD src0_sel:DWORD src1_sel:BYTE_0
	v_lshlrev_b32_sdwa v43, v9, v32 dst_sel:DWORD dst_unused:UNUSED_PAD src0_sel:DWORD src1_sel:BYTE_1
	global_load_dwordx2 v[32:33], v41, s[0:1]
	global_load_dwordx2 v[34:35], v43, s[0:1] offset:2048
	v_add_f32_e32 v13, v13, v48
	v_lshlrev_b32_sdwa v45, v9, v8 dst_sel:DWORD dst_unused:UNUSED_PAD src0_sel:DWORD src1_sel:BYTE_0
	v_add_f32_e32 v13, v13, v42
	v_lshlrev_b32_sdwa v8, v9, v8 dst_sel:DWORD dst_unused:UNUSED_PAD src0_sel:DWORD src1_sel:BYTE_1
	global_load_dwordx2 v[41:42], v45, s[0:1]
	global_load_dwordx2 v[43:44], v8, s[0:1] offset:2048
	v_add_f32_e32 v8, v46, v57
	v_add_f32_e32 v45, v8, v60
	v_sub_f32_e32 v8, v13, v45
	v_add_f32_e32 v13, v13, v45
	s_waitcnt vmcnt(6)
	v_mul_f32_e32 v9, v25, v27
	v_fma_f32 v46, v24, v26, -v9
	v_add_f32_e32 v9, v10, v54
	v_add_f32_e32 v10, v9, v55
	;; [unrolled: 1-line block ×3, first 2 shown]
	v_mul_f32_e32 v24, v24, v27
	v_add_f32_e32 v47, v9, v47
	v_fmac_f32_e32 v24, v25, v26
	v_sub_f32_e32 v48, v10, v47
	v_mul_f32_e32 v9, v48, v24
	v_add_f32_e32 v27, v63, v64
	v_fma_f32 v9, v8, v46, -v9
	s_waitcnt vmcnt(4)
	v_mul_f32_e32 v25, v29, v31
	v_fma_f32 v26, v28, v30, -v25
	v_mul_f32_e32 v28, v28, v31
	v_fmac_f32_e32 v28, v29, v30
	v_mul_f32_e32 v8, v8, v24
	v_add_f32_e32 v24, v59, v49
	v_mul_f32_e32 v25, v27, v28
	v_fma_f32 v25, v24, v26, -v25
	v_mul_f32_e32 v24, v24, v28
	s_waitcnt vmcnt(2)
	v_mul_f32_e32 v30, v32, v35
	v_fmac_f32_e32 v24, v27, v26
	v_mul_f32_e32 v27, v33, v35
	v_add_f32_e32 v29, v62, v51
	v_fmac_f32_e32 v30, v33, v34
	v_add_f32_e32 v26, v56, v50
	v_fma_f32 v28, v32, v34, -v27
	v_mul_f32_e32 v27, v29, v30
	v_fma_f32 v27, v26, v28, -v27
	v_mul_f32_e32 v26, v26, v30
	v_fmac_f32_e32 v26, v29, v28
	s_waitcnt vmcnt(0)
	v_mul_f32_e32 v28, v42, v44
	v_fma_f32 v35, v41, v43, -v28
	v_mad_u64_u32 v[28:29], s[0:1], s8, v38, 0
	v_mul_f32_e32 v41, v41, v44
	v_add_f32_e32 v45, v10, v47
	v_fmac_f32_e32 v41, v42, v43
	v_mad_u64_u32 v[32:33], s[0:1], s12, v39, 0
	v_mul_f32_e32 v10, v45, v41
	v_fma_f32 v31, v13, v35, -v10
	v_mov_b32_e32 v10, v29
	v_mad_u64_u32 v[29:30], s[0:1], s9, v38, v[10:11]
	v_mov_b32_e32 v10, v33
	v_mad_u64_u32 v[33:34], s[0:1], s13, v39, v[10:11]
	s_lshl_b64 s[0:1], s[2:3], 3
	s_add_u32 s2, s14, s0
	v_lshlrev_b64 v[28:29], 3, v[28:29]
	v_mul_f32_e32 v30, v13, v41
	s_addc_u32 s0, s15, s1
	v_fmac_f32_e32 v30, v45, v35
	v_mov_b32_e32 v10, s0
	v_mad_u64_u32 v[34:35], s[0:1], s12, v36, 0
	v_add_co_u32_e32 v38, vcc, s2, v28
	v_addc_co_u32_e32 v39, vcc, v10, v29, vcc
	v_lshlrev_b64 v[28:29], 3, v[32:33]
	v_mov_b32_e32 v10, v35
	v_add_co_u32_e32 v28, vcc, v38, v28
	v_addc_co_u32_e32 v29, vcc, v39, v29, vcc
	v_mad_u64_u32 v[32:33], s[0:1], s13, v36, v[10:11]
	global_store_dwordx2 v[28:29], v[30:31], off
	v_mad_u64_u32 v[30:31], s[0:1], s12, v22, 0
	v_mov_b32_e32 v35, v32
	v_lshlrev_b64 v[28:29], 3, v[34:35]
	v_mov_b32_e32 v10, v31
	v_mad_u64_u32 v[31:32], s[0:1], s13, v22, v[10:11]
	v_add_co_u32_e32 v28, vcc, v38, v28
	v_addc_co_u32_e32 v29, vcc, v39, v29, vcc
	v_mad_u64_u32 v[32:33], s[0:1], s12, v20, 0
	global_store_dwordx2 v[28:29], v[26:27], off
	v_lshlrev_b64 v[26:27], 3, v[30:31]
	v_mov_b32_e32 v10, v33
	v_add_co_u32_e32 v26, vcc, v38, v26
	v_addc_co_u32_e32 v27, vcc, v39, v27, vcc
	global_store_dwordx2 v[26:27], v[24:25], off
	v_mad_u64_u32 v[26:27], s[0:1], s12, v23, 0
	v_mad_u64_u32 v[28:29], s[0:1], s13, v20, v[10:11]
	v_mov_b32_e32 v10, v27
	v_mad_u64_u32 v[22:23], s[0:1], s13, v23, v[10:11]
	v_mov_b32_e32 v33, v28
	v_lshlrev_b64 v[24:25], 3, v[32:33]
	v_fmac_f32_e32 v8, v48, v46
	v_add_co_u32_e32 v24, vcc, v38, v24
	v_addc_co_u32_e32 v25, vcc, v39, v25, vcc
	v_mad_u64_u32 v[28:29], s[0:1], s12, v21, 0
	v_mov_b32_e32 v27, v22
	global_store_dwordx2 v[24:25], v[8:9], off
	v_lshlrev_b64 v[8:9], 3, v[26:27]
	v_mov_b32_e32 v10, v29
	v_add_co_u32_e32 v8, vcc, v38, v8
	v_addc_co_u32_e32 v9, vcc, v39, v9, vcc
	v_mad_u32_u24 v22, v40, 60, v37
	v_mad_u64_u32 v[20:21], s[0:1], s13, v21, v[10:11]
	global_store_dwordx2 v[8:9], v[18:19], off
	v_mad_u64_u32 v[18:19], s[0:1], s12, v22, 0
	v_mov_b32_e32 v29, v20
	v_lshlrev_b64 v[8:9], 3, v[28:29]
	v_mov_b32_e32 v10, v19
	v_mad_u64_u32 v[19:20], s[0:1], s13, v22, v[10:11]
	v_add_co_u32_e32 v8, vcc, v38, v8
	v_addc_co_u32_e32 v9, vcc, v39, v9, vcc
	v_add_u32_e32 v13, 12, v22
	v_mad_u64_u32 v[20:21], s[0:1], s12, v13, 0
	global_store_dwordx2 v[8:9], v[16:17], off
	v_lshlrev_b64 v[8:9], 3, v[18:19]
	v_mov_b32_e32 v10, v21
	v_add_co_u32_e32 v8, vcc, v38, v8
	v_addc_co_u32_e32 v9, vcc, v39, v9, vcc
	global_store_dwordx2 v[8:9], v[14:15], off
	v_add_u32_e32 v15, 24, v22
	v_mad_u64_u32 v[16:17], s[0:1], s13, v13, v[10:11]
	v_mad_u64_u32 v[13:14], s[0:1], s12, v15, 0
	v_add_u32_e32 v17, 36, v22
	v_mov_b32_e32 v21, v16
	v_mov_b32_e32 v10, v14
	v_mad_u64_u32 v[14:15], s[0:1], s13, v15, v[10:11]
	v_mad_u64_u32 v[15:16], s[0:1], s12, v17, 0
	v_lshlrev_b64 v[8:9], 3, v[20:21]
	v_add_co_u32_e32 v8, vcc, v38, v8
	v_addc_co_u32_e32 v9, vcc, v39, v9, vcc
	v_mov_b32_e32 v10, v16
	global_store_dwordx2 v[8:9], v[11:12], off
	v_mad_u64_u32 v[10:11], s[0:1], s13, v17, v[10:11]
	v_lshlrev_b64 v[8:9], 3, v[13:14]
	v_add_u32_e32 v12, 60, v22
	v_add_co_u32_e32 v8, vcc, v38, v8
	v_addc_co_u32_e32 v9, vcc, v39, v9, vcc
	v_mov_b32_e32 v16, v10
	v_add_u32_e32 v10, 48, v22
	global_store_dwordx2 v[8:9], v[6:7], off
	v_mad_u64_u32 v[8:9], s[0:1], s12, v10, 0
	v_lshlrev_b64 v[6:7], 3, v[15:16]
	v_mad_u64_u32 v[9:10], s[0:1], s13, v10, v[9:10]
	v_mad_u64_u32 v[10:11], s[0:1], s12, v12, 0
	v_add_co_u32_e32 v6, vcc, v38, v6
	v_addc_co_u32_e32 v7, vcc, v39, v7, vcc
	global_store_dwordx2 v[6:7], v[4:5], off
	v_mov_b32_e32 v6, v11
	v_mad_u64_u32 v[6:7], s[0:1], s13, v12, v[6:7]
	v_lshlrev_b64 v[4:5], 3, v[8:9]
	v_add_co_u32_e32 v4, vcc, v38, v4
	v_addc_co_u32_e32 v5, vcc, v39, v5, vcc
	v_mov_b32_e32 v11, v6
	global_store_dwordx2 v[4:5], v[2:3], off
	v_lshlrev_b64 v[2:3], 3, v[10:11]
	v_add_co_u32_e32 v2, vcc, v38, v2
	v_addc_co_u32_e32 v3, vcc, v39, v3, vcc
	global_store_dwordx2 v[2:3], v[0:1], off
.LBB0_12:
	s_endpgm
	.section	.rodata,"a",@progbits
	.p2align	6, 0x0
	.amdhsa_kernel fft_rtc_back_len72_factors_2_6_6_wgs_192_tpt_6_halfLds_dim2_sp_ip_CI_sbcc_twdbase8_2step_dirReg
		.amdhsa_group_segment_fixed_size 0
		.amdhsa_private_segment_fixed_size 0
		.amdhsa_kernarg_size 88
		.amdhsa_user_sgpr_count 6
		.amdhsa_user_sgpr_private_segment_buffer 1
		.amdhsa_user_sgpr_dispatch_ptr 0
		.amdhsa_user_sgpr_queue_ptr 0
		.amdhsa_user_sgpr_kernarg_segment_ptr 1
		.amdhsa_user_sgpr_dispatch_id 0
		.amdhsa_user_sgpr_flat_scratch_init 0
		.amdhsa_user_sgpr_private_segment_size 0
		.amdhsa_uses_dynamic_stack 0
		.amdhsa_system_sgpr_private_segment_wavefront_offset 0
		.amdhsa_system_sgpr_workgroup_id_x 1
		.amdhsa_system_sgpr_workgroup_id_y 0
		.amdhsa_system_sgpr_workgroup_id_z 0
		.amdhsa_system_sgpr_workgroup_info 0
		.amdhsa_system_vgpr_workitem_id 0
		.amdhsa_next_free_vgpr 65
		.amdhsa_next_free_sgpr 24
		.amdhsa_reserve_vcc 1
		.amdhsa_reserve_flat_scratch 0
		.amdhsa_float_round_mode_32 0
		.amdhsa_float_round_mode_16_64 0
		.amdhsa_float_denorm_mode_32 3
		.amdhsa_float_denorm_mode_16_64 3
		.amdhsa_dx10_clamp 1
		.amdhsa_ieee_mode 1
		.amdhsa_fp16_overflow 0
		.amdhsa_exception_fp_ieee_invalid_op 0
		.amdhsa_exception_fp_denorm_src 0
		.amdhsa_exception_fp_ieee_div_zero 0
		.amdhsa_exception_fp_ieee_overflow 0
		.amdhsa_exception_fp_ieee_underflow 0
		.amdhsa_exception_fp_ieee_inexact 0
		.amdhsa_exception_int_div_zero 0
	.end_amdhsa_kernel
	.text
.Lfunc_end0:
	.size	fft_rtc_back_len72_factors_2_6_6_wgs_192_tpt_6_halfLds_dim2_sp_ip_CI_sbcc_twdbase8_2step_dirReg, .Lfunc_end0-fft_rtc_back_len72_factors_2_6_6_wgs_192_tpt_6_halfLds_dim2_sp_ip_CI_sbcc_twdbase8_2step_dirReg
                                        ; -- End function
	.section	.AMDGPU.csdata,"",@progbits
; Kernel info:
; codeLenInByte = 5936
; NumSgprs: 28
; NumVgprs: 65
; ScratchSize: 0
; MemoryBound: 0
; FloatMode: 240
; IeeeMode: 1
; LDSByteSize: 0 bytes/workgroup (compile time only)
; SGPRBlocks: 3
; VGPRBlocks: 16
; NumSGPRsForWavesPerEU: 28
; NumVGPRsForWavesPerEU: 65
; Occupancy: 3
; WaveLimiterHint : 1
; COMPUTE_PGM_RSRC2:SCRATCH_EN: 0
; COMPUTE_PGM_RSRC2:USER_SGPR: 6
; COMPUTE_PGM_RSRC2:TRAP_HANDLER: 0
; COMPUTE_PGM_RSRC2:TGID_X_EN: 1
; COMPUTE_PGM_RSRC2:TGID_Y_EN: 0
; COMPUTE_PGM_RSRC2:TGID_Z_EN: 0
; COMPUTE_PGM_RSRC2:TIDIG_COMP_CNT: 0
	.type	__hip_cuid_db9c114497d52c5f,@object ; @__hip_cuid_db9c114497d52c5f
	.section	.bss,"aw",@nobits
	.globl	__hip_cuid_db9c114497d52c5f
__hip_cuid_db9c114497d52c5f:
	.byte	0                               ; 0x0
	.size	__hip_cuid_db9c114497d52c5f, 1

	.ident	"AMD clang version 19.0.0git (https://github.com/RadeonOpenCompute/llvm-project roc-6.4.0 25133 c7fe45cf4b819c5991fe208aaa96edf142730f1d)"
	.section	".note.GNU-stack","",@progbits
	.addrsig
	.addrsig_sym __hip_cuid_db9c114497d52c5f
	.amdgpu_metadata
---
amdhsa.kernels:
  - .args:
      - .actual_access:  read_only
        .address_space:  global
        .offset:         0
        .size:           8
        .value_kind:     global_buffer
      - .address_space:  global
        .offset:         8
        .size:           8
        .value_kind:     global_buffer
      - .actual_access:  read_only
        .address_space:  global
        .offset:         16
        .size:           8
        .value_kind:     global_buffer
      - .actual_access:  read_only
        .address_space:  global
        .offset:         24
        .size:           8
        .value_kind:     global_buffer
      - .offset:         32
        .size:           8
        .value_kind:     by_value
      - .actual_access:  read_only
        .address_space:  global
        .offset:         40
        .size:           8
        .value_kind:     global_buffer
      - .actual_access:  read_only
        .address_space:  global
        .offset:         48
        .size:           8
        .value_kind:     global_buffer
      - .offset:         56
        .size:           4
        .value_kind:     by_value
      - .actual_access:  read_only
        .address_space:  global
        .offset:         64
        .size:           8
        .value_kind:     global_buffer
      - .actual_access:  read_only
        .address_space:  global
        .offset:         72
        .size:           8
        .value_kind:     global_buffer
      - .address_space:  global
        .offset:         80
        .size:           8
        .value_kind:     global_buffer
    .group_segment_fixed_size: 0
    .kernarg_segment_align: 8
    .kernarg_segment_size: 88
    .language:       OpenCL C
    .language_version:
      - 2
      - 0
    .max_flat_workgroup_size: 192
    .name:           fft_rtc_back_len72_factors_2_6_6_wgs_192_tpt_6_halfLds_dim2_sp_ip_CI_sbcc_twdbase8_2step_dirReg
    .private_segment_fixed_size: 0
    .sgpr_count:     28
    .sgpr_spill_count: 0
    .symbol:         fft_rtc_back_len72_factors_2_6_6_wgs_192_tpt_6_halfLds_dim2_sp_ip_CI_sbcc_twdbase8_2step_dirReg.kd
    .uniform_work_group_size: 1
    .uses_dynamic_stack: false
    .vgpr_count:     65
    .vgpr_spill_count: 0
    .wavefront_size: 64
amdhsa.target:   amdgcn-amd-amdhsa--gfx906
amdhsa.version:
  - 1
  - 2
...

	.end_amdgpu_metadata
